;; amdgpu-corpus repo=ROCm/rocFFT kind=compiled arch=gfx906 opt=O3
	.text
	.amdgcn_target "amdgcn-amd-amdhsa--gfx906"
	.amdhsa_code_object_version 6
	.protected	fft_rtc_fwd_len1980_factors_11_2_3_3_5_2_wgs_198_tpt_198_halfLds_half_ip_CI_unitstride_sbrr_C2R_dirReg ; -- Begin function fft_rtc_fwd_len1980_factors_11_2_3_3_5_2_wgs_198_tpt_198_halfLds_half_ip_CI_unitstride_sbrr_C2R_dirReg
	.globl	fft_rtc_fwd_len1980_factors_11_2_3_3_5_2_wgs_198_tpt_198_halfLds_half_ip_CI_unitstride_sbrr_C2R_dirReg
	.p2align	8
	.type	fft_rtc_fwd_len1980_factors_11_2_3_3_5_2_wgs_198_tpt_198_halfLds_half_ip_CI_unitstride_sbrr_C2R_dirReg,@function
fft_rtc_fwd_len1980_factors_11_2_3_3_5_2_wgs_198_tpt_198_halfLds_half_ip_CI_unitstride_sbrr_C2R_dirReg: ; @fft_rtc_fwd_len1980_factors_11_2_3_3_5_2_wgs_198_tpt_198_halfLds_half_ip_CI_unitstride_sbrr_C2R_dirReg
; %bb.0:
	s_load_dwordx2 s[2:3], s[4:5], 0x50
	s_load_dwordx4 s[8:11], s[4:5], 0x0
	s_load_dwordx2 s[12:13], s[4:5], 0x18
	v_mul_u32_u24_e32 v1, 0x14b, v0
	v_add_u32_sdwa v5, s6, v1 dst_sel:DWORD dst_unused:UNUSED_PAD src0_sel:DWORD src1_sel:WORD_1
	v_mov_b32_e32 v3, 0
	s_waitcnt lgkmcnt(0)
	v_cmp_lt_u64_e64 s[0:1], s[10:11], 2
	v_mov_b32_e32 v1, 0
	v_mov_b32_e32 v6, v3
	s_and_b64 vcc, exec, s[0:1]
	v_mov_b32_e32 v2, 0
	s_cbranch_vccnz .LBB0_8
; %bb.1:
	s_load_dwordx2 s[0:1], s[4:5], 0x10
	s_add_u32 s6, s12, 8
	s_addc_u32 s7, s13, 0
	v_mov_b32_e32 v1, 0
	v_mov_b32_e32 v2, 0
	s_waitcnt lgkmcnt(0)
	s_add_u32 s14, s0, 8
	s_addc_u32 s15, s1, 0
	s_mov_b64 s[16:17], 1
.LBB0_2:                                ; =>This Inner Loop Header: Depth=1
	s_load_dwordx2 s[18:19], s[14:15], 0x0
                                        ; implicit-def: $vgpr7_vgpr8
	s_waitcnt lgkmcnt(0)
	v_or_b32_e32 v4, s19, v6
	v_cmp_ne_u64_e32 vcc, 0, v[3:4]
	s_and_saveexec_b64 s[0:1], vcc
	s_xor_b64 s[20:21], exec, s[0:1]
	s_cbranch_execz .LBB0_4
; %bb.3:                                ;   in Loop: Header=BB0_2 Depth=1
	v_cvt_f32_u32_e32 v4, s18
	v_cvt_f32_u32_e32 v7, s19
	s_sub_u32 s0, 0, s18
	s_subb_u32 s1, 0, s19
	v_mac_f32_e32 v4, 0x4f800000, v7
	v_rcp_f32_e32 v4, v4
	v_mul_f32_e32 v4, 0x5f7ffffc, v4
	v_mul_f32_e32 v7, 0x2f800000, v4
	v_trunc_f32_e32 v7, v7
	v_mac_f32_e32 v4, 0xcf800000, v7
	v_cvt_u32_f32_e32 v7, v7
	v_cvt_u32_f32_e32 v4, v4
	v_mul_lo_u32 v8, s0, v7
	v_mul_hi_u32 v9, s0, v4
	v_mul_lo_u32 v11, s1, v4
	v_mul_lo_u32 v10, s0, v4
	v_add_u32_e32 v8, v9, v8
	v_add_u32_e32 v8, v8, v11
	v_mul_hi_u32 v9, v4, v10
	v_mul_lo_u32 v11, v4, v8
	v_mul_hi_u32 v13, v4, v8
	v_mul_hi_u32 v12, v7, v10
	v_mul_lo_u32 v10, v7, v10
	v_mul_hi_u32 v14, v7, v8
	v_add_co_u32_e32 v9, vcc, v9, v11
	v_addc_co_u32_e32 v11, vcc, 0, v13, vcc
	v_mul_lo_u32 v8, v7, v8
	v_add_co_u32_e32 v9, vcc, v9, v10
	v_addc_co_u32_e32 v9, vcc, v11, v12, vcc
	v_addc_co_u32_e32 v10, vcc, 0, v14, vcc
	v_add_co_u32_e32 v8, vcc, v9, v8
	v_addc_co_u32_e32 v9, vcc, 0, v10, vcc
	v_add_co_u32_e32 v4, vcc, v4, v8
	v_addc_co_u32_e32 v7, vcc, v7, v9, vcc
	v_mul_lo_u32 v8, s0, v7
	v_mul_hi_u32 v9, s0, v4
	v_mul_lo_u32 v10, s1, v4
	v_mul_lo_u32 v11, s0, v4
	v_add_u32_e32 v8, v9, v8
	v_add_u32_e32 v8, v8, v10
	v_mul_lo_u32 v12, v4, v8
	v_mul_hi_u32 v13, v4, v11
	v_mul_hi_u32 v14, v4, v8
	;; [unrolled: 1-line block ×3, first 2 shown]
	v_mul_lo_u32 v11, v7, v11
	v_mul_hi_u32 v9, v7, v8
	v_add_co_u32_e32 v12, vcc, v13, v12
	v_addc_co_u32_e32 v13, vcc, 0, v14, vcc
	v_mul_lo_u32 v8, v7, v8
	v_add_co_u32_e32 v11, vcc, v12, v11
	v_addc_co_u32_e32 v10, vcc, v13, v10, vcc
	v_addc_co_u32_e32 v9, vcc, 0, v9, vcc
	v_add_co_u32_e32 v8, vcc, v10, v8
	v_addc_co_u32_e32 v9, vcc, 0, v9, vcc
	v_add_co_u32_e32 v4, vcc, v4, v8
	v_addc_co_u32_e32 v9, vcc, v7, v9, vcc
	v_mad_u64_u32 v[7:8], s[0:1], v5, v9, 0
	v_mul_hi_u32 v10, v5, v4
	v_add_co_u32_e32 v11, vcc, v10, v7
	v_addc_co_u32_e32 v12, vcc, 0, v8, vcc
	v_mad_u64_u32 v[7:8], s[0:1], v6, v4, 0
	v_mad_u64_u32 v[9:10], s[0:1], v6, v9, 0
	v_add_co_u32_e32 v4, vcc, v11, v7
	v_addc_co_u32_e32 v4, vcc, v12, v8, vcc
	v_addc_co_u32_e32 v7, vcc, 0, v10, vcc
	v_add_co_u32_e32 v4, vcc, v4, v9
	v_addc_co_u32_e32 v9, vcc, 0, v7, vcc
	v_mul_lo_u32 v10, s19, v4
	v_mul_lo_u32 v11, s18, v9
	v_mad_u64_u32 v[7:8], s[0:1], s18, v4, 0
	v_add3_u32 v8, v8, v11, v10
	v_sub_u32_e32 v10, v6, v8
	v_mov_b32_e32 v11, s19
	v_sub_co_u32_e32 v7, vcc, v5, v7
	v_subb_co_u32_e64 v10, s[0:1], v10, v11, vcc
	v_subrev_co_u32_e64 v11, s[0:1], s18, v7
	v_subbrev_co_u32_e64 v10, s[0:1], 0, v10, s[0:1]
	v_cmp_le_u32_e64 s[0:1], s19, v10
	v_cndmask_b32_e64 v12, 0, -1, s[0:1]
	v_cmp_le_u32_e64 s[0:1], s18, v11
	v_cndmask_b32_e64 v11, 0, -1, s[0:1]
	v_cmp_eq_u32_e64 s[0:1], s19, v10
	v_cndmask_b32_e64 v10, v12, v11, s[0:1]
	v_add_co_u32_e64 v11, s[0:1], 2, v4
	v_addc_co_u32_e64 v12, s[0:1], 0, v9, s[0:1]
	v_add_co_u32_e64 v13, s[0:1], 1, v4
	v_addc_co_u32_e64 v14, s[0:1], 0, v9, s[0:1]
	v_subb_co_u32_e32 v8, vcc, v6, v8, vcc
	v_cmp_ne_u32_e64 s[0:1], 0, v10
	v_cmp_le_u32_e32 vcc, s19, v8
	v_cndmask_b32_e64 v10, v14, v12, s[0:1]
	v_cndmask_b32_e64 v12, 0, -1, vcc
	v_cmp_le_u32_e32 vcc, s18, v7
	v_cndmask_b32_e64 v7, 0, -1, vcc
	v_cmp_eq_u32_e32 vcc, s19, v8
	v_cndmask_b32_e32 v7, v12, v7, vcc
	v_cmp_ne_u32_e32 vcc, 0, v7
	v_cndmask_b32_e64 v7, v13, v11, s[0:1]
	v_cndmask_b32_e32 v8, v9, v10, vcc
	v_cndmask_b32_e32 v7, v4, v7, vcc
.LBB0_4:                                ;   in Loop: Header=BB0_2 Depth=1
	s_andn2_saveexec_b64 s[0:1], s[20:21]
	s_cbranch_execz .LBB0_6
; %bb.5:                                ;   in Loop: Header=BB0_2 Depth=1
	v_cvt_f32_u32_e32 v4, s18
	s_sub_i32 s20, 0, s18
	v_rcp_iflag_f32_e32 v4, v4
	v_mul_f32_e32 v4, 0x4f7ffffe, v4
	v_cvt_u32_f32_e32 v4, v4
	v_mul_lo_u32 v7, s20, v4
	v_mul_hi_u32 v7, v4, v7
	v_add_u32_e32 v4, v4, v7
	v_mul_hi_u32 v4, v5, v4
	v_mul_lo_u32 v7, v4, s18
	v_add_u32_e32 v8, 1, v4
	v_sub_u32_e32 v7, v5, v7
	v_subrev_u32_e32 v9, s18, v7
	v_cmp_le_u32_e32 vcc, s18, v7
	v_cndmask_b32_e32 v7, v7, v9, vcc
	v_cndmask_b32_e32 v4, v4, v8, vcc
	v_add_u32_e32 v8, 1, v4
	v_cmp_le_u32_e32 vcc, s18, v7
	v_cndmask_b32_e32 v7, v4, v8, vcc
	v_mov_b32_e32 v8, v3
.LBB0_6:                                ;   in Loop: Header=BB0_2 Depth=1
	s_or_b64 exec, exec, s[0:1]
	v_mul_lo_u32 v4, v8, s18
	v_mul_lo_u32 v11, v7, s19
	v_mad_u64_u32 v[9:10], s[0:1], v7, s18, 0
	s_load_dwordx2 s[0:1], s[6:7], 0x0
	s_add_u32 s16, s16, 1
	v_add3_u32 v4, v10, v11, v4
	v_sub_co_u32_e32 v5, vcc, v5, v9
	v_subb_co_u32_e32 v4, vcc, v6, v4, vcc
	s_waitcnt lgkmcnt(0)
	v_mul_lo_u32 v4, s0, v4
	v_mul_lo_u32 v6, s1, v5
	v_mad_u64_u32 v[1:2], s[0:1], s0, v5, v[1:2]
	s_addc_u32 s17, s17, 0
	s_add_u32 s6, s6, 8
	v_add3_u32 v2, v6, v2, v4
	v_mov_b32_e32 v4, s10
	v_mov_b32_e32 v5, s11
	s_addc_u32 s7, s7, 0
	v_cmp_ge_u64_e32 vcc, s[16:17], v[4:5]
	s_add_u32 s14, s14, 8
	s_addc_u32 s15, s15, 0
	s_cbranch_vccnz .LBB0_9
; %bb.7:                                ;   in Loop: Header=BB0_2 Depth=1
	v_mov_b32_e32 v5, v7
	v_mov_b32_e32 v6, v8
	s_branch .LBB0_2
.LBB0_8:
	v_mov_b32_e32 v8, v6
	v_mov_b32_e32 v7, v5
.LBB0_9:
	s_lshl_b64 s[0:1], s[10:11], 3
	s_add_u32 s0, s12, s0
	s_addc_u32 s1, s13, s1
	s_load_dwordx2 s[6:7], s[0:1], 0x0
	s_load_dwordx2 s[10:11], s[4:5], 0x20
	v_mov_b32_e32 v6, 0
	s_waitcnt lgkmcnt(0)
	v_mad_u64_u32 v[1:2], s[0:1], s6, v7, v[1:2]
	s_mov_b32 s0, 0x14afd6b
	v_mul_lo_u32 v3, s6, v8
	v_mul_lo_u32 v4, s7, v7
	v_mul_hi_u32 v5, v0, s0
	v_cmp_gt_u64_e64 s[0:1], s[10:11], v[7:8]
	v_add3_u32 v2, v4, v2, v3
	v_mul_u32_u24_e32 v3, 0xc6, v5
	v_sub_u32_e32 v5, v0, v3
	v_lshlrev_b64 v[2:3], 2, v[1:2]
	v_mov_b32_e32 v0, v5
	s_and_saveexec_b64 s[4:5], s[0:1]
	s_cbranch_execz .LBB0_13
; %bb.10:
	v_mov_b32_e32 v0, s3
	v_add_co_u32_e32 v1, vcc, s2, v2
	v_lshlrev_b64 v[7:8], 2, v[5:6]
	v_addc_co_u32_e32 v0, vcc, v0, v3, vcc
	v_add_co_u32_e32 v7, vcc, v1, v7
	v_addc_co_u32_e32 v8, vcc, v0, v8, vcc
	s_movk_i32 s6, 0x1000
	v_add_co_u32_e32 v9, vcc, s6, v7
	v_addc_co_u32_e32 v10, vcc, 0, v8, vcc
	global_load_dword v4, v[7:8], off
	global_load_dword v11, v[7:8], off offset:792
	global_load_dword v12, v[7:8], off offset:1584
	;; [unrolled: 1-line block ×9, first 2 shown]
	v_lshl_add_u32 v7, v5, 2, 0
	s_movk_i32 s6, 0xc5
	v_add_u32_e32 v8, 0x600, v7
	v_add_u32_e32 v9, 0xc00, v7
	v_add_u32_e32 v10, 0x1200, v7
	v_add_u32_e32 v20, 0x1800, v7
	v_cmp_eq_u32_e32 vcc, s6, v5
	s_waitcnt vmcnt(8)
	ds_write2_b32 v7, v4, v11 offset1:198
	s_waitcnt vmcnt(6)
	ds_write2_b32 v8, v12, v13 offset0:12 offset1:210
	s_waitcnt vmcnt(4)
	ds_write2_b32 v9, v14, v15 offset0:24 offset1:222
	;; [unrolled: 2-line block ×4, first 2 shown]
	v_mov_b32_e32 v7, v6
	v_mov_b32_e32 v6, v5
	s_and_saveexec_b64 s[6:7], vcc
	s_cbranch_execz .LBB0_12
; %bb.11:
	v_add_co_u32_e32 v4, vcc, 0x1000, v1
	v_addc_co_u32_e32 v5, vcc, 0, v0, vcc
	global_load_dword v0, v[4:5], off offset:3824
	v_mov_b32_e32 v6, 0xc5
	v_mov_b32_e32 v1, 0
	;; [unrolled: 1-line block ×4, first 2 shown]
	s_waitcnt vmcnt(0)
	ds_write_b32 v1, v0 offset:7920
.LBB0_12:
	s_or_b64 exec, exec, s[6:7]
	v_mov_b32_e32 v0, v5
	v_mov_b32_e32 v5, v6
	;; [unrolled: 1-line block ×3, first 2 shown]
.LBB0_13:
	s_or_b64 exec, exec, s[4:5]
	v_lshlrev_b32_e32 v4, 2, v0
	v_add_u32_e32 v20, 0, v4
	s_waitcnt lgkmcnt(0)
	s_barrier
	v_sub_u32_e32 v10, 0, v4
	ds_read_u16 v1, v20
	ds_read_u16 v8, v10 offset:7920
	s_add_u32 s6, s8, 0x1ec4
	v_lshlrev_b64 v[6:7], 2, v[5:6]
	s_addc_u32 s7, s9, 0
	v_cmp_ne_u32_e32 vcc, 0, v0
	s_waitcnt lgkmcnt(0)
	v_add_f16_e32 v11, v8, v1
	v_sub_f16_e32 v5, v1, v8
	s_and_saveexec_b64 s[4:5], vcc
	s_xor_b64 s[4:5], exec, s[4:5]
	s_cbranch_execz .LBB0_15
; %bb.14:
	v_mov_b32_e32 v5, s7
	v_add_co_u32_e32 v11, vcc, s6, v6
	v_addc_co_u32_e32 v12, vcc, v5, v7, vcc
	global_load_dword v9, v[11:12], off
	ds_read_u16 v5, v10 offset:7922
	ds_read_u16 v11, v20 offset:2
	v_add_f16_e32 v12, v8, v1
	v_sub_f16_e32 v1, v1, v8
	s_waitcnt lgkmcnt(0)
	v_add_f16_e32 v8, v5, v11
	v_sub_f16_e32 v5, v11, v5
	s_waitcnt vmcnt(0)
	v_lshrrev_b32_e32 v11, 16, v9
	v_fma_f16 v13, v1, v11, v12
	v_fma_f16 v14, v8, v11, v5
	v_fma_f16 v12, -v1, v11, v12
	v_fma_f16 v15, v8, v11, -v5
	v_fma_f16 v11, -v9, v8, v13
	v_fma_f16 v5, v1, v9, v14
	v_fma_f16 v8, v9, v8, v12
	;; [unrolled: 1-line block ×3, first 2 shown]
	v_pack_b32_f16 v1, v8, v1
	ds_write_b32 v10, v1 offset:7920
.LBB0_15:
	s_andn2_saveexec_b64 s[4:5], s[4:5]
	s_cbranch_execz .LBB0_17
; %bb.16:
	v_mov_b32_e32 v1, 0
	ds_read_b32 v8, v1 offset:3960
	s_mov_b32 s10, 0xc0004000
	s_waitcnt lgkmcnt(0)
	v_pk_mul_f16 v8, v8, s10
	ds_write_b32 v1, v8 offset:3960
.LBB0_17:
	s_or_b64 exec, exec, s[4:5]
	v_mov_b32_e32 v1, 0
	v_lshlrev_b64 v[8:9], 2, v[0:1]
	v_mov_b32_e32 v1, s7
	v_add_co_u32_e32 v12, vcc, s6, v8
	v_addc_co_u32_e32 v13, vcc, v1, v9, vcc
	global_load_dword v1, v[12:13], off offset:792
	global_load_dword v14, v[12:13], off offset:1584
	;; [unrolled: 1-line block ×4, first 2 shown]
	s_mov_b32 s6, 0x5040100
	v_perm_b32 v5, v5, v11, s6
	ds_write_b32 v20, v5
	ds_read_b32 v5, v20 offset:792
	ds_read_b32 v11, v10 offset:7128
	s_mov_b32 s13, 0xb853
	s_movk_i32 s7, 0x3abb
	s_mov_b32 s22, 0xbb47
	s_movk_i32 s10, 0x36a6
	s_waitcnt lgkmcnt(0)
	v_add_f16_e32 v12, v5, v11
	v_add_f16_sdwa v13, v11, v5 dst_sel:DWORD dst_unused:UNUSED_PAD src0_sel:WORD_1 src1_sel:WORD_1
	v_sub_f16_e32 v17, v5, v11
	v_sub_f16_sdwa v5, v5, v11 dst_sel:DWORD dst_unused:UNUSED_PAD src0_sel:WORD_1 src1_sel:WORD_1
	s_mov_b32 s11, 0xbbeb
	s_mov_b32 s12, 0xb08e
	;; [unrolled: 1-line block ×6, first 2 shown]
	s_movk_i32 s4, 0xb4
	v_cmp_gt_u32_e32 vcc, s4, v0
	s_waitcnt vmcnt(3)
	v_lshrrev_b32_e32 v11, 16, v1
	v_fma_f16 v18, v17, v11, v12
	v_fma_f16 v19, v13, v11, v5
	v_fma_f16 v12, -v17, v11, v12
	v_fma_f16 v5, v13, v11, -v5
	v_fma_f16 v11, -v1, v13, v18
	v_fma_f16 v18, v17, v1, v19
	v_fma_f16 v12, v1, v13, v12
	;; [unrolled: 1-line block ×3, first 2 shown]
	v_pack_b32_f16 v5, v11, v18
	v_pack_b32_f16 v1, v12, v1
	ds_write_b32 v20, v5 offset:792
	ds_write_b32 v10, v1 offset:7128
	ds_read_b32 v1, v20 offset:1584
	ds_read_b32 v5, v10 offset:6336
	s_waitcnt vmcnt(2)
	v_lshrrev_b32_e32 v11, 16, v14
	s_waitcnt lgkmcnt(0)
	v_add_f16_e32 v12, v1, v5
	v_add_f16_sdwa v13, v5, v1 dst_sel:DWORD dst_unused:UNUSED_PAD src0_sel:WORD_1 src1_sel:WORD_1
	v_sub_f16_e32 v17, v1, v5
	v_sub_f16_sdwa v1, v1, v5 dst_sel:DWORD dst_unused:UNUSED_PAD src0_sel:WORD_1 src1_sel:WORD_1
	v_fma_f16 v5, v17, v11, v12
	v_fma_f16 v18, v13, v11, v1
	v_fma_f16 v12, -v17, v11, v12
	v_fma_f16 v1, v13, v11, -v1
	v_fma_f16 v5, -v14, v13, v5
	v_fma_f16 v11, v17, v14, v18
	v_fma_f16 v12, v14, v13, v12
	;; [unrolled: 1-line block ×3, first 2 shown]
	v_pack_b32_f16 v5, v5, v11
	v_pack_b32_f16 v1, v12, v1
	ds_write_b32 v20, v5 offset:1584
	ds_write_b32 v10, v1 offset:6336
	ds_read_b32 v1, v20 offset:2376
	ds_read_b32 v5, v10 offset:5544
	s_waitcnt vmcnt(1)
	v_lshrrev_b32_e32 v11, 16, v15
	v_add_u32_e32 v12, 0x500, v20
	v_add_u32_e32 v13, 0x1600, v20
	s_waitcnt lgkmcnt(0)
	v_add_f16_e32 v14, v1, v5
	v_add_f16_sdwa v17, v5, v1 dst_sel:DWORD dst_unused:UNUSED_PAD src0_sel:WORD_1 src1_sel:WORD_1
	v_sub_f16_e32 v18, v1, v5
	v_sub_f16_sdwa v1, v1, v5 dst_sel:DWORD dst_unused:UNUSED_PAD src0_sel:WORD_1 src1_sel:WORD_1
	v_fma_f16 v5, v18, v11, v14
	v_fma_f16 v19, v17, v11, v1
	v_fma_f16 v14, -v18, v11, v14
	v_fma_f16 v1, v17, v11, -v1
	v_fma_f16 v5, -v15, v17, v5
	v_fma_f16 v11, v18, v15, v19
	v_fma_f16 v14, v15, v17, v14
	;; [unrolled: 1-line block ×3, first 2 shown]
	v_pack_b32_f16 v5, v5, v11
	v_pack_b32_f16 v1, v14, v1
	ds_write_b32 v20, v5 offset:2376
	ds_write_b32 v10, v1 offset:5544
	ds_read_b32 v1, v20 offset:3168
	ds_read_b32 v5, v10 offset:4752
	s_waitcnt vmcnt(0)
	v_lshrrev_b32_e32 v11, 16, v16
	s_waitcnt lgkmcnt(0)
	v_add_f16_e32 v14, v1, v5
	v_add_f16_sdwa v15, v5, v1 dst_sel:DWORD dst_unused:UNUSED_PAD src0_sel:WORD_1 src1_sel:WORD_1
	v_sub_f16_e32 v17, v1, v5
	v_sub_f16_sdwa v1, v1, v5 dst_sel:DWORD dst_unused:UNUSED_PAD src0_sel:WORD_1 src1_sel:WORD_1
	v_fma_f16 v5, v17, v11, v14
	v_fma_f16 v18, v15, v11, v1
	v_fma_f16 v14, -v17, v11, v14
	v_fma_f16 v1, v15, v11, -v1
	v_fma_f16 v5, -v16, v15, v5
	v_fma_f16 v11, v17, v16, v18
	v_fma_f16 v14, v16, v15, v14
	;; [unrolled: 1-line block ×3, first 2 shown]
	v_pack_b32_f16 v5, v5, v11
	v_pack_b32_f16 v1, v14, v1
	ds_write_b32 v20, v5 offset:3168
	ds_write_b32 v10, v1 offset:4752
	s_waitcnt lgkmcnt(0)
	s_barrier
	s_barrier
	ds_read2_b32 v[10:11], v20 offset1:180
	ds_read_b32 v24, v20 offset:7200
	ds_read2_b32 v[18:19], v12 offset0:40 offset1:220
	ds_read2_b32 v[12:13], v13 offset0:32 offset1:212
	v_add_u32_e32 v16, 0x1000, v20
	ds_read2_b32 v[16:17], v16 offset0:56 offset1:236
	s_waitcnt lgkmcnt(3)
	v_pk_add_f16 v27, v24, v11
	v_pk_add_f16 v21, v11, v24 neg_lo:[0,1] neg_hi:[0,1]
	s_waitcnt lgkmcnt(1)
	v_pk_add_f16 v26, v13, v18
	v_pk_add_f16 v22, v18, v13 neg_lo:[0,1] neg_hi:[0,1]
	v_mul_f16_sdwa v33, v21, s13 dst_sel:DWORD dst_unused:UNUSED_PAD src0_sel:WORD_1 src1_sel:DWORD
	v_lshrrev_b32_e32 v38, 16, v27
	v_mul_f16_e32 v36, 0xb853, v21
	v_pk_add_f16 v23, v19, v12 neg_lo:[0,1] neg_hi:[0,1]
	v_mul_f16_sdwa v32, v22, s22 dst_sel:DWORD dst_unused:UNUSED_PAD src0_sel:WORD_1 src1_sel:DWORD
	v_lshrrev_b32_e32 v39, 16, v26
	v_mul_f16_e32 v37, 0xbb47, v22
	v_fma_f16 v1, v27, s7, v33
	v_fma_f16 v14, v38, s7, -v36
	v_pk_add_f16 v25, v12, v19
	v_fma_f16 v5, v26, s10, v32
	v_fma_f16 v15, v39, s10, -v37
	v_add_f16_e32 v1, v10, v1
	v_add_f16_sdwa v14, v10, v14 dst_sel:DWORD dst_unused:UNUSED_PAD src0_sel:WORD_1 src1_sel:DWORD
	v_mul_f16_sdwa v34, v23, s11 dst_sel:DWORD dst_unused:UNUSED_PAD src0_sel:WORD_1 src1_sel:DWORD
	v_add_f16_e32 v1, v5, v1
	v_add_f16_e32 v5, v15, v14
	v_fma_f16 v14, v25, s12, v34
	v_add_f16_e32 v1, v14, v1
	v_add_u32_e32 v14, 0xb00, v20
	ds_read2_b32 v[14:15], v14 offset0:16 offset1:196
	v_lshrrev_b32_e32 v42, 16, v25
	v_mul_f16_e32 v41, 0xbbeb, v23
	v_fma_f16 v28, v42, s12, -v41
	v_add_f16_e32 v5, v28, v5
	s_waitcnt lgkmcnt(0)
	v_pk_add_f16 v28, v14, v17 neg_lo:[0,1] neg_hi:[0,1]
	v_pk_add_f16 v29, v17, v14
	v_mul_f16_sdwa v35, v28, s14 dst_sel:DWORD dst_unused:UNUSED_PAD src0_sel:WORD_1 src1_sel:DWORD
	v_fma_f16 v30, v29, s15, v35
	v_lshrrev_b32_e32 v44, 16, v29
	v_mul_f16_e32 v43, 0xba0c, v28
	v_add_f16_e32 v1, v30, v1
	v_fma_f16 v30, v44, s15, -v43
	v_add_f16_e32 v5, v30, v5
	v_pk_add_f16 v30, v15, v16 neg_lo:[0,1] neg_hi:[0,1]
	v_pk_add_f16 v31, v16, v15
	v_mul_f16_sdwa v40, v30, s16 dst_sel:DWORD dst_unused:UNUSED_PAD src0_sel:WORD_1 src1_sel:DWORD
	v_fma_f16 v45, v31, s17, v40
	v_add_f16_e32 v1, v45, v1
	v_lshrrev_b32_e32 v46, 16, v31
	v_mul_f16_e32 v45, 0xb482, v30
	v_fma_f16 v47, v46, s17, -v45
	v_add_f16_e32 v5, v47, v5
	s_barrier
	s_and_saveexec_b64 s[4:5], vcc
	s_cbranch_execz .LBB0_19
; %bb.18:
	v_mul_f16_sdwa v47, v21, s22 dst_sel:DWORD dst_unused:UNUSED_PAD src0_sel:WORD_1 src1_sel:DWORD
	v_fma_f16 v48, v27, s10, v47
	v_mul_f16_sdwa v49, v22, s14 dst_sel:DWORD dst_unused:UNUSED_PAD src0_sel:WORD_1 src1_sel:DWORD
	v_add_f16_e32 v48, v10, v48
	v_fma_f16 v50, v26, s15, v49
	s_movk_i32 s19, 0x3482
	v_add_f16_e32 v48, v50, v48
	v_mul_f16_sdwa v50, v23, s19 dst_sel:DWORD dst_unused:UNUSED_PAD src0_sel:WORD_1 src1_sel:DWORD
	v_fma_f16 v51, v25, s17, v50
	s_movk_i32 s20, 0x3beb
	v_add_f16_e32 v48, v51, v48
	v_mul_f16_sdwa v51, v28, s20 dst_sel:DWORD dst_unused:UNUSED_PAD src0_sel:WORD_1 src1_sel:DWORD
	;; [unrolled: 4-line block ×3, first 2 shown]
	v_fma_f16 v53, v31, s7, v52
	v_add_f16_e32 v48, v53, v48
	v_mul_f16_e32 v53, 0xb08e, v38
	v_fma_f16 v54, v21, s20, v53
	v_mul_f16_e32 v55, 0xbbad, v39
	v_add_f16_sdwa v54, v10, v54 dst_sel:DWORD dst_unused:UNUSED_PAD src0_sel:WORD_1 src1_sel:DWORD
	v_fma_f16 v56, v22, s16, v55
	v_add_f16_e32 v54, v56, v54
	v_mul_f16_e32 v56, 0x36a6, v42
	v_fma_f16 v57, v23, s22, v56
	v_add_f16_e32 v54, v57, v54
	v_mul_f16_e32 v57, 0x3abb, v44
	v_pk_add_f16 v11, v10, v11
	v_fma_f16 v58, v28, s18, v57
	v_pk_add_f16 v11, v11, v18
	v_mul_f16_e32 v18, 0xb93d, v46
	s_movk_i32 s22, 0x3a0c
	s_mov_b32 s21, 0x36a6b08e
	v_add_f16_e32 v54, v58, v54
	v_pk_add_f16 v11, v11, v19
	v_fma_f16 v19, v30, s22, v18
	v_add_f16_e32 v19, v19, v54
	v_pk_mul_f16 v54, v27, s21
	s_mov_b32 s21, 0xbbebbb47
	s_mov_b32 s23, 0xb93dbbad
	;; [unrolled: 1-line block ×3, first 2 shown]
	v_pk_fma_f16 v58, v21, s21, v54 op_sel:[0,0,1] op_sel_hi:[1,1,0]
	v_pk_mul_f16 v60, v26, s23
	v_alignbit_b32 v59, s0, v58, 16
	v_pk_fma_f16 v61, v22, s24, v60 op_sel:[0,0,1] op_sel_hi:[1,1,0]
	v_pk_add_f16 v59, v10, v59
	v_alignbit_b32 v62, s0, v61, 16
	s_mov_b32 s23, 0xbbad36a6
	v_pk_add_f16 v59, v62, v59
	s_mov_b32 s25, 0x3b473482
	v_pk_mul_f16 v62, v25, s23
	v_pk_fma_f16 v63, v23, s25, v62 op_sel:[0,0,1] op_sel_hi:[1,1,0]
	v_alignbit_b32 v64, s0, v63, 16
	v_pk_add_f16 v59, v64, v59
	v_mul_f16_e32 v64, 0xb93d, v38
	v_mul_f16_e32 v38, 0x3abb, v38
	v_add_f16_e32 v36, v36, v38
	v_mul_f16_e32 v38, 0x36a6, v39
	v_add_f16_e32 v37, v37, v38
	v_add_f16_sdwa v36, v10, v36 dst_sel:DWORD dst_unused:UNUSED_PAD src0_sel:WORD_1 src1_sel:DWORD
	v_fma_f16 v65, v21, s22, v64
	v_mul_f16_e32 v66, 0xb08e, v39
	v_add_f16_e32 v36, v37, v36
	v_mul_f16_e32 v37, 0xb08e, v42
	v_add_f16_sdwa v65, v10, v65 dst_sel:DWORD dst_unused:UNUSED_PAD src0_sel:WORD_1 src1_sel:DWORD
	v_fma_f16 v67, v22, s11, v66
	v_add_f16_e32 v37, v41, v37
	v_add_f16_e32 v65, v67, v65
	v_mul_f16_e32 v67, 0x3abb, v42
	v_add_f16_e32 v36, v37, v36
	v_mul_f16_e32 v37, 0x3abb, v27
	v_mul_f16_e32 v38, 0xb93d, v44
	v_fma_f16 v68, v23, s18, v67
	v_add_f16_e32 v38, v43, v38
	v_mul_f16_e32 v39, 0x36a6, v26
	v_sub_f16_e32 v33, v37, v33
	v_pk_add_f16 v11, v11, v14
	v_add_f16_e32 v65, v68, v65
	v_mul_f16_sdwa v68, v21, s14 dst_sel:DWORD dst_unused:UNUSED_PAD src0_sel:WORD_1 src1_sel:DWORD
	v_fma_f16 v53, v21, s11, v53
	v_add_f16_e32 v36, v38, v36
	v_mul_f16_e32 v38, 0xb08e, v25
	v_mul_f16_e32 v41, 0xbbad, v46
	v_sub_f16_e32 v32, v39, v32
	v_add_f16_e32 v33, v10, v33
	v_pk_add_f16 v11, v11, v15
	v_fma_f16 v69, v27, s15, v68
	v_mul_f16_sdwa v70, v22, s20 dst_sel:DWORD dst_unused:UNUSED_PAD src0_sel:WORD_1 src1_sel:DWORD
	s_movk_i32 s22, 0x3b47
	v_fma_f16 v64, v21, s14, v64
	v_add_f16_sdwa v53, v10, v53 dst_sel:DWORD dst_unused:UNUSED_PAD src0_sel:WORD_1 src1_sel:DWORD
	v_fma_f16 v55, v22, s19, v55
	v_add_f16_e32 v41, v45, v41
	v_mul_f16_e32 v42, 0xb93d, v29
	v_add_f16_e32 v32, v32, v33
	v_sub_f16_e32 v34, v38, v34
	v_pk_add_f16 v11, v11, v16
	v_add_f16_e32 v69, v10, v69
	v_fma_f16 v71, v26, s12, v70
	v_add_f16_sdwa v64, v10, v64 dst_sel:DWORD dst_unused:UNUSED_PAD src0_sel:WORD_1 src1_sel:DWORD
	v_fma_f16 v66, v22, s20, v66
	v_add_f16_e32 v53, v55, v53
	v_fma_f16 v55, v23, s22, v56
	v_add_f16_e32 v36, v41, v36
	v_mul_f16_e32 v41, 0xbbad, v31
	v_add_f16_e32 v32, v34, v32
	v_sub_f16_e32 v35, v42, v35
	v_pk_add_f16 v11, v11, v17
	v_add_f16_e32 v69, v71, v69
	v_mul_f16_sdwa v71, v23, s13 dst_sel:DWORD dst_unused:UNUSED_PAD src0_sel:WORD_1 src1_sel:DWORD
	v_add_f16_e32 v64, v66, v64
	v_fma_f16 v66, v23, s13, v67
	v_add_f16_e32 v53, v55, v53
	v_fma_f16 v55, v28, s13, v57
	s_mov_b32 s13, 0xb08e3abb
	v_add_f16_e32 v32, v35, v32
	v_sub_f16_e32 v40, v41, v40
	v_pk_add_f16 v11, v11, v12
	v_pk_mul_f16 v39, v29, s13
	s_mov_b32 s13, 0xb8533beb
	v_add_f16_e32 v32, v40, v32
	v_pk_add_f16 v11, v11, v13
	v_pk_fma_f16 v43, v21, s21, v54 op_sel:[0,0,1] op_sel_hi:[1,1,0] neg_lo:[1,0,0] neg_hi:[1,0,0]
	v_pk_fma_f16 v33, v28, s13, v39 op_sel:[0,0,1] op_sel_hi:[1,1,0] neg_lo:[1,0,0] neg_hi:[1,0,0]
	v_pk_fma_f16 v39, v28, s13, v39 op_sel:[0,0,1] op_sel_hi:[1,1,0]
	v_mad_u32_u24 v40, v0, 40, v20
	v_pk_add_f16 v11, v11, v24
	v_pack_b32_f16 v12, v32, v36
	s_mov_b32 s13, 0xffff
	v_add_f16_e32 v64, v66, v64
	v_mul_f16_e32 v66, 0xbbad, v44
	v_pk_fma_f16 v44, v22, s24, v60 op_sel:[0,0,1] op_sel_hi:[1,1,0] neg_lo:[1,0,0] neg_hi:[1,0,0]
	ds_write2_b32 v40, v11, v12 offset1:1
	v_bfi_b32 v11, s13, v58, v43
	v_fma_f16 v72, v25, s7, v71
	v_fma_f16 v47, v27, s10, -v47
	v_pk_fma_f16 v45, v23, s25, v62 op_sel:[0,0,1] op_sel_hi:[1,1,0] neg_lo:[1,0,0] neg_hi:[1,0,0]
	v_pk_add_f16 v11, v10, v11 op_sel:[1,0] op_sel_hi:[0,1]
	v_bfi_b32 v12, s13, v61, v44
	v_add_f16_e32 v69, v72, v69
	v_mul_f16_sdwa v72, v28, s16 dst_sel:DWORD dst_unused:UNUSED_PAD src0_sel:WORD_1 src1_sel:DWORD
	v_fma_f16 v68, v27, s15, -v68
	v_add_f16_e32 v47, v10, v47
	v_fma_f16 v49, v26, s15, -v49
	s_mov_b32 s20, 0x3abbb93d
	v_pk_add_f16 v11, v12, v11
	v_bfi_b32 v12, s13, v63, v45
	v_fma_f16 v73, v29, s17, v72
	v_add_f16_e32 v68, v10, v68
	v_fma_f16 v70, v26, s12, -v70
	v_add_f16_e32 v47, v49, v47
	v_fma_f16 v49, v25, s17, -v50
	v_pk_mul_f16 v38, v31, s20
	s_mov_b32 s20, 0xba0c3853
	v_pk_add_f16 v11, v12, v11
	v_bfi_b32 v12, s13, v39, v33
	v_add_f16_e32 v69, v73, v69
	v_mul_f16_sdwa v73, v30, s22 dst_sel:DWORD dst_unused:UNUSED_PAD src0_sel:WORD_1 src1_sel:DWORD
	v_fma_f16 v67, v28, s16, v66
	v_add_f16_e32 v68, v70, v68
	v_fma_f16 v70, v25, s7, -v71
	v_add_f16_e32 v47, v49, v47
	v_fma_f16 v49, v29, s12, -v51
	v_pk_fma_f16 v42, v30, s20, v38 op_sel:[0,0,1] op_sel_hi:[1,1,0] neg_lo:[1,0,0] neg_hi:[1,0,0]
	v_pk_add_f16 v11, v12, v11
	v_pk_fma_f16 v12, v30, s20, v38 op_sel:[0,0,1] op_sel_hi:[1,1,0]
	v_fma_f16 v74, v31, s10, v73
	v_add_f16_e32 v64, v67, v64
	v_mul_f16_e32 v67, 0x36a6, v46
	v_add_f16_e32 v68, v70, v68
	v_fma_f16 v70, v29, s17, -v72
	v_add_f16_e32 v53, v55, v53
	v_fma_f16 v18, v30, s14, v18
	v_add_f16_e32 v47, v49, v47
	v_fma_f16 v49, v31, s7, -v52
	v_bfi_b32 v12, s13, v12, v42
	v_add_f16_e32 v69, v74, v69
	v_fma_f16 v74, v30, s22, v67
	v_add_f16_e32 v68, v70, v68
	v_fma_f16 v70, v31, s10, -v73
	v_add_f16_e32 v18, v18, v53
	v_add_f16_e32 v47, v49, v47
	v_pk_add_f16 v11, v12, v11
	v_add_f16_e32 v64, v74, v64
	v_add_f16_e32 v68, v70, v68
	v_alignbit_b32 v12, v18, v11, 16
	v_pack_b32_f16 v11, v47, v11
	ds_write2_b32 v40, v11, v12 offset0:2 offset1:3
	v_pack_b32_f16 v11, v68, v64
	ds_write_b32 v40, v11 offset:16
	v_pk_mul_f16 v11, v27, s17 op_sel_hi:[1,0]
	v_alignbit_b32 v37, s0, v10, 16
	v_pk_fma_f16 v12, v21, s16, v11 op_sel:[0,0,1] op_sel_hi:[1,0,0] neg_lo:[1,0,0] neg_hi:[1,0,0]
	v_pk_mul_f16 v14, v26, s7 op_sel_hi:[1,0]
	v_pk_add_f16 v13, v37, v12
	v_pk_fma_f16 v15, v22, s18, v14 op_sel:[0,0,1] op_sel_hi:[1,0,0] neg_lo:[1,0,0] neg_hi:[1,0,0]
	v_pk_mul_f16 v16, v25, s15 op_sel_hi:[1,0]
	v_pk_fma_f16 v11, v21, s16, v11 op_sel:[0,0,1] op_sel_hi:[1,0,0]
	v_alignbit_b32 v12, s0, v12, 16
	v_add_f16_sdwa v35, v10, v43 dst_sel:DWORD dst_unused:UNUSED_PAD src0_sel:WORD_1 src1_sel:DWORD
	v_pk_fma_f16 v17, v23, s14, v16 op_sel:[0,0,1] op_sel_hi:[1,0,0] neg_lo:[1,0,0] neg_hi:[1,0,0]
	v_pk_mul_f16 v18, v29, s10 op_sel_hi:[1,0]
	v_pk_add_f16 v11, v10, v11 op_sel:[1,0] op_sel_hi:[0,1]
	v_pk_fma_f16 v14, v22, s18, v14 op_sel:[0,0,1] op_sel_hi:[1,0,0]
	v_pk_add_f16 v10, v10, v12
	v_alignbit_b32 v12, s0, v15, 16
	v_pk_add_f16 v13, v15, v13
	v_pk_fma_f16 v24, v28, s22, v18 op_sel:[0,0,1] op_sel_hi:[1,0,0] neg_lo:[1,0,0] neg_hi:[1,0,0]
	v_pk_mul_f16 v25, v31, s12 op_sel_hi:[1,0]
	v_pk_add_f16 v11, v14, v11
	v_pk_fma_f16 v14, v23, s14, v16 op_sel:[0,0,1] op_sel_hi:[1,0,0]
	v_pk_add_f16 v10, v12, v10
	v_alignbit_b32 v12, s0, v17, 16
	v_pk_add_f16 v13, v17, v13
	v_pk_fma_f16 v26, v30, s11, v25 op_sel:[0,0,1] op_sel_hi:[1,0,0] neg_lo:[1,0,0] neg_hi:[1,0,0]
	v_pk_add_f16 v11, v14, v11
	v_pk_fma_f16 v14, v28, s22, v18 op_sel:[0,0,1] op_sel_hi:[1,0,0]
	v_pk_add_f16 v10, v12, v10
	v_alignbit_b32 v12, s0, v24, 16
	v_pk_add_f16 v13, v24, v13
	v_pk_add_f16 v11, v14, v11
	v_pk_fma_f16 v14, v30, s11, v25 op_sel:[0,0,1] op_sel_hi:[1,0,0]
	v_pk_add_f16 v10, v12, v10
	v_alignbit_b32 v12, s0, v26, 16
	v_pk_add_f16 v13, v26, v13
	v_pk_add_f16 v11, v14, v11
	;; [unrolled: 1-line block ×3, first 2 shown]
	v_pk_mul_f16 v34, v30, s20
	v_fma_f16 v46, v28, s19, v66
	v_alignbit_b32 v12, v13, v11, 16
	v_pack_b32_f16 v10, v10, v11
	ds_write2_b32 v40, v10, v12 offset0:5 offset1:6
	v_pack_b32_f16 v10, v46, v38
	v_bfi_b32 v11, s13, v65, v34
	v_mul_f16_e32 v41, 0x3b47, v30
	v_pk_add_f16 v10, v10, v11
	v_lshlrev_b32_e32 v11, 16, v59
	v_add_f16_e32 v35, v44, v35
	v_pk_add_f16 v12, v67, v41 neg_lo:[0,1] neg_hi:[0,1]
	v_pk_add_f16 v11, v39, v11
	v_add_f16_e32 v35, v45, v35
	v_bfi_b32 v11, s13, v12, v11
	v_add_f16_e32 v35, v33, v35
	v_pk_add_f16 v10, v11, v10
	v_add_f16_e32 v35, v42, v35
	v_alignbit_b32 v11, v19, v10, 16
	v_pack_b32_f16 v10, v69, v10
	ds_write2_b32 v40, v10, v11 offset0:7 offset1:8
	v_pack_b32_f16 v10, v48, v35
	v_perm_b32 v11, v5, v1, s6
	ds_write2_b32 v40, v10, v11 offset0:9 offset1:10
.LBB0_19:
	s_or_b64 exec, exec, s[4:5]
	v_add_u32_e32 v10, 0x318, v0
	s_mov_b32 s4, 0xba2f
	v_add_u32_e32 v18, 0xc6, v0
	v_mul_u32_u24_sdwa v14, v10, s4 dst_sel:DWORD dst_unused:UNUSED_PAD src0_sel:WORD_0 src1_sel:DWORD
	v_mul_u32_u24_sdwa v24, v18, s4 dst_sel:DWORD dst_unused:UNUSED_PAD src0_sel:WORD_0 src1_sel:DWORD
	v_lshrrev_b32_e32 v31, 19, v14
	v_add_u32_e32 v17, 0x18c, v0
	v_add_u32_e32 v16, 0x252, v0
	v_lshrrev_b32_e32 v19, 19, v24
	v_mul_lo_u16_e32 v14, 11, v31
	v_mul_lo_u16_e32 v11, 11, v19
	v_mul_u32_u24_sdwa v23, v17, s4 dst_sel:DWORD dst_unused:UNUSED_PAD src0_sel:WORD_0 src1_sel:DWORD
	v_mul_u32_u24_sdwa v21, v16, s4 dst_sel:DWORD dst_unused:UNUSED_PAD src0_sel:WORD_0 src1_sel:DWORD
	v_sub_u16_e32 v10, v10, v14
	s_movk_i32 s4, 0x75
	v_sub_u16_e32 v11, v18, v11
	v_lshlrev_b32_e32 v35, 2, v10
	v_mul_lo_u16_sdwa v10, v0, s4 dst_sel:DWORD dst_unused:UNUSED_PAD src0_sel:BYTE_0 src1_sel:DWORD
	v_lshlrev_b32_e32 v32, 2, v11
	v_sub_u16_sdwa v11, v0, v10 dst_sel:DWORD dst_unused:UNUSED_PAD src0_sel:DWORD src1_sel:BYTE_1
	v_lshrrev_b16_e32 v11, 1, v11
	v_and_b32_e32 v11, 0x7f, v11
	v_add_u16_sdwa v10, v11, v10 dst_sel:DWORD dst_unused:UNUSED_PAD src0_sel:DWORD src1_sel:BYTE_1
	v_lshrrev_b16_e32 v40, 3, v10
	v_lshrrev_b32_e32 v29, 19, v23
	v_lshrrev_b32_e32 v30, 19, v21
	v_mul_lo_u16_e32 v10, 11, v40
	v_mul_lo_u16_e32 v12, 11, v29
	;; [unrolled: 1-line block ×3, first 2 shown]
	v_sub_u16_e32 v10, v0, v10
	v_mov_b32_e32 v22, 2
	v_sub_u16_e32 v12, v17, v12
	v_sub_u16_e32 v13, v16, v13
	v_lshlrev_b32_sdwa v41, v22, v10 dst_sel:DWORD dst_unused:UNUSED_PAD src0_sel:DWORD src1_sel:BYTE_0
	s_waitcnt lgkmcnt(0)
	s_barrier
	v_lshlrev_b32_e32 v33, 2, v12
	v_lshlrev_b32_e32 v34, 2, v13
	global_load_dword v36, v35, s[8:9]
	global_load_dword v37, v34, s[8:9]
	;; [unrolled: 1-line block ×5, first 2 shown]
	v_add_u32_e32 v12, 0xc00, v20
	v_add_u32_e32 v14, 0x1200, v20
	;; [unrolled: 1-line block ×4, first 2 shown]
	ds_read2_b32 v[10:11], v20 offset1:198
	ds_read2_b32 v[12:13], v12 offset0:24 offset1:222
	ds_read2_b32 v[14:15], v14 offset0:36 offset1:234
	;; [unrolled: 1-line block ×4, first 2 shown]
	v_mul_u32_u24_e32 v19, 0x58, v19
	v_mul_u32_u24_e32 v29, 0x58, v29
	;; [unrolled: 1-line block ×3, first 2 shown]
	v_add3_u32 v32, 0, v19, v32
	v_mul_u32_u24_e32 v19, 0x58, v40
	v_mul_u32_u24_e32 v31, 0x58, v31
	v_add3_u32 v29, 0, v29, v33
	v_add3_u32 v30, 0, v30, v34
	;; [unrolled: 1-line block ×3, first 2 shown]
	s_mov_b32 s4, 0xffff
	v_add3_u32 v31, 0, v31, v35
	s_waitcnt vmcnt(0) lgkmcnt(0)
	s_barrier
	v_pk_mul_f16 v19, v36, v28 op_sel:[0,1]
	v_pk_mul_f16 v34, v37, v27 op_sel:[0,1]
	;; [unrolled: 1-line block ×3, first 2 shown]
	v_pk_fma_f16 v41, v36, v28, v19 op_sel:[0,0,1] op_sel_hi:[1,1,0] neg_lo:[0,0,1] neg_hi:[0,0,1]
	v_pk_fma_f16 v19, v36, v28, v19 op_sel:[0,0,1] op_sel_hi:[1,0,0]
	v_pk_fma_f16 v28, v37, v27, v34 op_sel:[0,0,1] op_sel_hi:[1,1,0] neg_lo:[0,0,1] neg_hi:[0,0,1]
	v_pk_fma_f16 v27, v37, v27, v34 op_sel:[0,0,1] op_sel_hi:[1,0,0]
	;; [unrolled: 2-line block ×3, first 2 shown]
	v_bfi_b32 v27, s4, v28, v27
	v_pk_mul_f16 v28, v42, v13 op_sel:[0,1]
	v_pk_mul_f16 v40, v39, v14 op_sel:[0,1]
	v_bfi_b32 v15, s4, v34, v15
	v_pk_fma_f16 v34, v42, v13, v28 op_sel:[0,0,1] op_sel_hi:[1,1,0] neg_lo:[0,0,1] neg_hi:[0,0,1]
	v_pk_fma_f16 v13, v42, v13, v28 op_sel:[0,0,1] op_sel_hi:[1,0,0]
	v_pk_fma_f16 v35, v39, v14, v40 op_sel:[0,0,1] op_sel_hi:[1,1,0] neg_lo:[0,0,1] neg_hi:[0,0,1]
	v_pk_fma_f16 v14, v39, v14, v40 op_sel:[0,0,1] op_sel_hi:[1,0,0]
	v_bfi_b32 v19, s4, v41, v19
	v_bfi_b32 v13, s4, v34, v13
	;; [unrolled: 1-line block ×3, first 2 shown]
	v_pk_add_f16 v19, v12, v19 neg_lo:[0,1] neg_hi:[0,1]
	v_pk_add_f16 v13, v10, v13 neg_lo:[0,1] neg_hi:[0,1]
	;; [unrolled: 1-line block ×5, first 2 shown]
	v_pk_fma_f16 v12, v12, 2.0, v19 op_sel_hi:[1,0,1] neg_lo:[0,0,1] neg_hi:[0,0,1]
	v_pk_fma_f16 v10, v10, 2.0, v13 op_sel_hi:[1,0,1] neg_lo:[0,0,1] neg_hi:[0,0,1]
	;; [unrolled: 1-line block ×5, first 2 shown]
	ds_write2_b32 v33, v10, v13 offset1:11
	ds_write2_b32 v32, v11, v14 offset1:11
	;; [unrolled: 1-line block ×5, first 2 shown]
	v_add_u32_e32 v12, 0xa00, v20
	v_add_u32_e32 v14, 0x1400, v20
	s_waitcnt lgkmcnt(0)
	s_barrier
	ds_read2_b32 v[10:11], v20 offset1:198
	ds_read2_b32 v[12:13], v12 offset0:20 offset1:218
	ds_read2_b32 v[14:15], v14 offset0:40 offset1:238
	ds_read_b32 v26, v20 offset:1584
	ds_read_b32 v30, v20 offset:4224
	;; [unrolled: 1-line block ×3, first 2 shown]
	s_movk_i32 s4, 0x42
	v_cmp_gt_u32_e32 vcc, s4, v0
	v_lshrrev_b32_e32 v25, 16, v19
                                        ; implicit-def: $vgpr32
                                        ; implicit-def: $vgpr31
	s_and_saveexec_b64 s[4:5], vcc
	s_cbranch_execz .LBB0_21
; %bb.20:
	ds_read_b32 v19, v20 offset:2376
	ds_read_b32 v31, v20 offset:7656
	;; [unrolled: 1-line block ×3, first 2 shown]
	s_waitcnt lgkmcnt(2)
	v_lshrrev_b32_e32 v25, 16, v19
	s_waitcnt lgkmcnt(1)
	v_lshrrev_b32_e32 v32, 16, v31
	;; [unrolled: 2-line block ×3, first 2 shown]
.LBB0_21:
	s_or_b64 exec, exec, s[4:5]
	v_lshrrev_b16_e32 v27, 1, v0
	v_and_b32_e32 v27, 0x7f, v27
	v_mul_lo_u16_e32 v27, 0xbb, v27
	v_lshrrev_b16_e32 v39, 11, v27
	v_lshrrev_b32_e32 v41, 20, v24
	v_mul_lo_u16_e32 v27, 22, v39
	v_mul_lo_u16_e32 v24, 22, v41
	v_sub_u16_e32 v40, v0, v27
	v_mov_b32_e32 v27, 3
	v_sub_u16_e32 v42, v18, v24
	v_lshlrev_b32_sdwa v27, v27, v40 dst_sel:DWORD dst_unused:UNUSED_PAD src0_sel:DWORD src1_sel:BYTE_0
	v_lshlrev_b32_e32 v24, 3, v42
	v_lshrrev_b32_e32 v43, 20, v23
	global_load_dwordx2 v[33:34], v27, s[8:9] offset:44
	s_waitcnt lgkmcnt(4)
	v_lshrrev_b32_e32 v47, 16, v12
	global_load_dwordx2 v[23:24], v24, s[8:9] offset:44
	v_mul_lo_u16_e32 v27, 22, v43
	v_sub_u16_e32 v44, v17, v27
	v_lshrrev_b32_e32 v27, 20, v21
	v_lshlrev_b32_e32 v28, 3, v44
	v_mul_lo_u16_e32 v21, 22, v27
	global_load_dwordx2 v[35:36], v28, s[8:9] offset:44
	v_sub_u16_e32 v28, v16, v21
	v_lshlrev_b32_e32 v21, 3, v28
	global_load_dwordx2 v[37:38], v21, s[8:9] offset:44
	s_waitcnt lgkmcnt(3)
	v_lshrrev_b32_e32 v48, 16, v14
	v_lshrrev_b32_e32 v49, 16, v13
	;; [unrolled: 1-line block ×3, first 2 shown]
	s_waitcnt lgkmcnt(1)
	v_lshrrev_b32_e32 v51, 16, v30
	s_waitcnt lgkmcnt(0)
	v_lshrrev_b32_e32 v52, 16, v29
	v_lshrrev_b32_e32 v21, 16, v10
	;; [unrolled: 1-line block ×3, first 2 shown]
	s_movk_i32 s4, 0x3aee
	s_mov_b32 s5, 0xbaee
	v_lshrrev_b32_e32 v46, 16, v26
	v_lshlrev_b32_sdwa v22, v22, v40 dst_sel:DWORD dst_unused:UNUSED_PAD src0_sel:DWORD src1_sel:BYTE_0
	s_waitcnt vmcnt(0)
	s_barrier
	v_mul_f16_sdwa v53, v33, v47 dst_sel:DWORD dst_unused:UNUSED_PAD src0_sel:WORD_1 src1_sel:DWORD
	v_mul_f16_sdwa v55, v34, v48 dst_sel:DWORD dst_unused:UNUSED_PAD src0_sel:WORD_1 src1_sel:DWORD
	;; [unrolled: 1-line block ×8, first 2 shown]
	v_fma_f16 v12, v33, v12, -v53
	v_fma_f16 v14, v34, v14, -v55
	v_mul_f16_sdwa v61, v35, v51 dst_sel:DWORD dst_unused:UNUSED_PAD src0_sel:WORD_1 src1_sel:DWORD
	v_mul_f16_sdwa v65, v5, v37 dst_sel:DWORD dst_unused:UNUSED_PAD src0_sel:DWORD src1_sel:WORD_1
	v_mul_f16_sdwa v66, v1, v37 dst_sel:DWORD dst_unused:UNUSED_PAD src0_sel:DWORD src1_sel:WORD_1
	v_mul_f16_sdwa v62, v35, v30 dst_sel:DWORD dst_unused:UNUSED_PAD src0_sel:WORD_1 src1_sel:DWORD
	v_mul_f16_sdwa v63, v36, v52 dst_sel:DWORD dst_unused:UNUSED_PAD src0_sel:WORD_1 src1_sel:DWORD
	;; [unrolled: 1-line block ×3, first 2 shown]
	v_mul_f16_sdwa v67, v32, v38 dst_sel:DWORD dst_unused:UNUSED_PAD src0_sel:DWORD src1_sel:WORD_1
	v_mul_f16_sdwa v68, v31, v38 dst_sel:DWORD dst_unused:UNUSED_PAD src0_sel:DWORD src1_sel:WORD_1
	v_fma_f16 v33, v33, v47, v54
	v_fma_f16 v34, v34, v48, v56
	v_fma_f16 v13, v23, v13, -v57
	v_fma_f16 v23, v23, v49, v58
	v_fma_f16 v15, v24, v15, -v59
	;; [unrolled: 2-line block ×3, first 2 shown]
	v_fma_f16 v37, v5, v37, v66
	v_add_f16_e32 v1, v10, v12
	v_add_f16_e32 v5, v12, v14
	v_fma_f16 v30, v35, v30, -v61
	v_fma_f16 v35, v35, v51, v62
	v_fma_f16 v29, v36, v29, -v63
	v_fma_f16 v36, v36, v52, v64
	;; [unrolled: 2-line block ×3, first 2 shown]
	v_sub_f16_e32 v38, v33, v34
	v_add_f16_e32 v48, v21, v33
	v_add_f16_e32 v33, v33, v34
	v_sub_f16_e32 v12, v12, v14
	v_sub_f16_e32 v51, v23, v24
	v_add_f16_e32 v52, v45, v23
	v_add_f16_e32 v23, v23, v24
	;; [unrolled: 1-line block ×3, first 2 shown]
	v_fma_f16 v1, v5, -0.5, v10
	v_add_f16_e32 v49, v11, v13
	v_fma_f16 v5, v33, -0.5, v21
	v_fma_f16 v21, v23, -0.5, v45
	v_fma_f16 v45, v38, s4, v1
	v_fma_f16 v38, v38, s5, v1
	v_sub_f16_e32 v1, v13, v15
	v_add_f16_e32 v50, v13, v15
	v_add_f16_e32 v33, v49, v15
	v_fma_f16 v13, v1, s5, v21
	v_fma_f16 v15, v1, s4, v21
	v_add_f16_e32 v1, v26, v30
	v_fma_f16 v11, v50, -0.5, v11
	v_add_f16_e32 v50, v1, v29
	v_add_f16_e32 v1, v30, v29
	;; [unrolled: 1-line block ×3, first 2 shown]
	v_fma_f16 v48, v12, s5, v5
	v_fma_f16 v12, v12, s4, v5
	v_fma_f16 v1, v1, -0.5, v26
	v_sub_f16_e32 v5, v35, v36
	v_fma_f16 v49, v51, s4, v11
	v_fma_f16 v11, v51, s5, v11
	v_fma_f16 v26, v5, s4, v1
	v_fma_f16 v51, v5, s5, v1
	v_add_f16_e32 v1, v46, v35
	v_add_f16_e32 v34, v52, v24
	;; [unrolled: 1-line block ×4, first 2 shown]
	v_fma_f16 v1, v1, -0.5, v46
	v_sub_f16_e32 v5, v30, v29
	v_fma_f16 v29, v5, s5, v1
	v_fma_f16 v30, v5, s4, v1
	v_add_f16_e32 v5, v47, v31
	v_add_f16_e32 v1, v19, v47
	v_fma_f16 v5, v5, -0.5, v19
	v_sub_f16_e32 v19, v37, v32
	v_add_f16_e32 v23, v37, v32
	v_fma_f16 v21, v19, s4, v5
	v_fma_f16 v19, v19, s5, v5
	v_add_f16_e32 v5, v25, v37
	v_fma_f16 v23, v23, -0.5, v25
	v_sub_f16_e32 v25, v47, v31
	v_fma_f16 v24, v25, s5, v23
	v_fma_f16 v23, v25, s4, v23
	v_mul_u32_u24_e32 v25, 0x108, v39
	v_add3_u32 v22, 0, v25, v22
	v_pack_b32_f16 v10, v14, v10
	v_pack_b32_f16 v14, v45, v48
	ds_write2_b32 v22, v10, v14 offset1:22
	v_pack_b32_f16 v10, v38, v12
	ds_write_b32 v22, v10 offset:176
	v_mul_u32_u24_e32 v10, 0x108, v41
	v_lshlrev_b32_e32 v12, 2, v42
	v_add3_u32 v10, 0, v10, v12
	v_pack_b32_f16 v12, v33, v34
	v_pack_b32_f16 v13, v49, v13
	;; [unrolled: 1-line block ×3, first 2 shown]
	ds_write2_b32 v10, v12, v13 offset1:22
	ds_write_b32 v10, v11 offset:176
	v_mul_u32_u24_e32 v10, 0x108, v43
	v_lshlrev_b32_e32 v11, 2, v44
	v_add3_u32 v10, 0, v10, v11
	v_pack_b32_f16 v11, v50, v52
	v_pack_b32_f16 v12, v26, v29
	v_add_f16_e32 v1, v1, v31
	v_add_f16_e32 v5, v5, v32
	ds_write2_b32 v10, v11, v12 offset1:22
	v_pack_b32_f16 v11, v51, v30
	ds_write_b32 v10, v11 offset:176
	s_and_saveexec_b64 s[4:5], vcc
	s_cbranch_execz .LBB0_23
; %bb.22:
	v_mul_lo_u16_e32 v10, 0x42, v27
	v_lshlrev_b32_e32 v11, 2, v28
	v_lshlrev_b32_e32 v10, 2, v10
	v_add3_u32 v10, 0, v11, v10
	v_perm_b32 v11, v5, v1, s6
	v_perm_b32 v12, v24, v21, s6
	ds_write2_b32 v10, v11, v12 offset1:22
	v_perm_b32 v11, v23, v19, s6
	ds_write_b32 v10, v11 offset:176
.LBB0_23:
	s_or_b64 exec, exec, s[4:5]
	v_add_u32_e32 v12, 0xa00, v20
	v_add_u32_e32 v14, 0x1400, v20
	s_waitcnt lgkmcnt(0)
	s_barrier
	ds_read2_b32 v[10:11], v20 offset1:198
	ds_read2_b32 v[12:13], v12 offset0:20 offset1:218
	ds_read2_b32 v[14:15], v14 offset0:40 offset1:238
	ds_read_b32 v22, v20 offset:1584
	ds_read_b32 v26, v20 offset:4224
	;; [unrolled: 1-line block ×3, first 2 shown]
	s_and_saveexec_b64 s[4:5], vcc
	s_cbranch_execz .LBB0_25
; %bb.24:
	ds_read_b32 v1, v20 offset:2376
	ds_read_b32 v19, v20 offset:7656
	;; [unrolled: 1-line block ×3, first 2 shown]
	s_waitcnt lgkmcnt(2)
	v_lshrrev_b32_e32 v5, 16, v1
	s_waitcnt lgkmcnt(1)
	v_lshrrev_b32_e32 v23, 16, v19
	s_waitcnt lgkmcnt(0)
	v_lshrrev_b32_e32 v24, 16, v21
.LBB0_25:
	s_or_b64 exec, exec, s[4:5]
	s_mov_b32 s11, 0xf83f
	s_movk_i32 s4, 0xf9
	v_mul_u32_u24_sdwa v28, v18, s11 dst_sel:DWORD dst_unused:UNUSED_PAD src0_sel:WORD_0 src1_sel:DWORD
	v_mul_lo_u16_sdwa v27, v0, s4 dst_sel:DWORD dst_unused:UNUSED_PAD src0_sel:BYTE_0 src1_sel:DWORD
	v_lshrrev_b32_e32 v33, 22, v28
	v_lshrrev_b16_e32 v31, 14, v27
	v_mul_lo_u16_e32 v28, 0x42, v33
	v_mul_lo_u16_e32 v27, 0x42, v31
	v_sub_u16_e32 v34, v18, v28
	v_mul_u32_u24_sdwa v29, v17, s11 dst_sel:DWORD dst_unused:UNUSED_PAD src0_sel:WORD_0 src1_sel:DWORD
	v_sub_u16_e32 v32, v0, v27
	v_mov_b32_e32 v27, 3
	v_lshlrev_b32_e32 v18, 3, v34
	v_lshrrev_b32_e32 v35, 22, v29
	v_lshlrev_b32_sdwa v27, v27, v32 dst_sel:DWORD dst_unused:UNUSED_PAD src0_sel:DWORD src1_sel:BYTE_0
	global_load_dwordx2 v[29:30], v18, s[8:9] offset:220
	v_mul_lo_u16_e32 v18, 0x42, v35
	global_load_dwordx2 v[27:28], v27, s[8:9] offset:220
	v_sub_u16_e32 v36, v17, v18
	v_lshlrev_b32_e32 v17, 3, v36
	global_load_dwordx2 v[17:18], v17, s[8:9] offset:220
	s_waitcnt lgkmcnt(4)
	v_lshrrev_b32_e32 v40, 16, v12
	s_waitcnt lgkmcnt(3)
	v_lshrrev_b32_e32 v41, 16, v14
	v_lshrrev_b32_e32 v42, 16, v13
	;; [unrolled: 1-line block ×3, first 2 shown]
	s_waitcnt lgkmcnt(1)
	v_lshrrev_b32_e32 v44, 16, v26
	s_waitcnt lgkmcnt(0)
	v_lshrrev_b32_e32 v45, 16, v25
	v_lshrrev_b32_e32 v38, 16, v11
	;; [unrolled: 1-line block ×4, first 2 shown]
	s_movk_i32 s7, 0x3aee
	s_mov_b32 s10, 0xbaee
	s_waitcnt vmcnt(0)
	s_barrier
	s_mov_b32 s6, 0xffff
	v_mul_f16_sdwa v50, v29, v42 dst_sel:DWORD dst_unused:UNUSED_PAD src0_sel:WORD_1 src1_sel:DWORD
	v_mul_f16_sdwa v51, v29, v13 dst_sel:DWORD dst_unused:UNUSED_PAD src0_sel:WORD_1 src1_sel:DWORD
	;; [unrolled: 1-line block ×8, first 2 shown]
	v_fma_f16 v12, v27, v12, -v46
	v_fma_f16 v14, v28, v14, -v48
	v_mul_f16_sdwa v54, v17, v44 dst_sel:DWORD dst_unused:UNUSED_PAD src0_sel:WORD_1 src1_sel:DWORD
	v_mul_f16_sdwa v55, v17, v26 dst_sel:DWORD dst_unused:UNUSED_PAD src0_sel:WORD_1 src1_sel:DWORD
	;; [unrolled: 1-line block ×4, first 2 shown]
	v_fma_f16 v27, v27, v40, v47
	v_fma_f16 v28, v28, v41, v49
	v_fma_f16 v13, v29, v13, -v50
	v_fma_f16 v29, v29, v42, v51
	v_fma_f16 v15, v30, v15, -v52
	v_fma_f16 v30, v30, v43, v53
	v_add_f16_e32 v41, v12, v14
	v_fma_f16 v26, v17, v26, -v54
	v_fma_f16 v17, v17, v44, v55
	v_fma_f16 v25, v18, v25, -v56
	v_fma_f16 v18, v18, v45, v57
	v_add_f16_e32 v40, v10, v12
	v_sub_f16_e32 v42, v27, v28
	v_sub_f16_e32 v46, v29, v30
	v_add_f16_e32 v47, v38, v29
	v_add_f16_e32 v29, v29, v30
	v_fma_f16 v10, v41, -0.5, v10
	v_add_f16_e32 v43, v37, v27
	v_add_f16_e32 v27, v27, v28
	v_sub_f16_e32 v50, v17, v18
	v_fma_f16 v29, v29, -0.5, v38
	v_fma_f16 v38, v42, s7, v10
	v_fma_f16 v10, v42, s10, v10
	v_add_f16_e32 v42, v39, v17
	v_add_f16_e32 v17, v17, v18
	v_sub_f16_e32 v12, v12, v14
	v_add_f16_e32 v48, v22, v26
	v_add_f16_e32 v49, v26, v25
	v_fma_f16 v27, v27, -0.5, v37
	v_add_f16_e32 v42, v42, v18
	v_fma_f16 v17, v17, -0.5, v39
	v_sub_f16_e32 v18, v26, v25
	v_mov_b32_e32 v26, 2
	v_add_f16_e32 v45, v13, v15
	v_add_f16_e32 v14, v40, v14
	;; [unrolled: 1-line block ×3, first 2 shown]
	v_fma_f16 v40, v12, s10, v27
	v_fma_f16 v12, v12, s7, v27
	;; [unrolled: 1-line block ×4, first 2 shown]
	v_mul_u32_u24_e32 v18, 0x318, v31
	v_lshlrev_b32_sdwa v26, v26, v32 dst_sel:DWORD dst_unused:UNUSED_PAD src0_sel:DWORD src1_sel:BYTE_0
	v_add_f16_e32 v44, v11, v13
	v_sub_f16_e32 v13, v13, v15
	v_add_f16_e32 v28, v43, v28
	v_fma_f16 v11, v45, -0.5, v11
	v_add3_u32 v18, 0, v18, v26
	v_pack_b32_f16 v10, v10, v12
	v_add_f16_e32 v15, v44, v15
	v_add_f16_e32 v30, v47, v30
	v_fma_f16 v27, v46, s7, v11
	v_fma_f16 v11, v46, s10, v11
	;; [unrolled: 1-line block ×4, first 2 shown]
	v_pack_b32_f16 v14, v14, v28
	v_pack_b32_f16 v26, v38, v40
	ds_write_b32 v18, v10 offset:528
	v_mul_u32_u24_e32 v10, 0x318, v33
	v_lshlrev_b32_e32 v12, 2, v34
	v_fma_f16 v22, v49, -0.5, v22
	ds_write2_b32 v18, v14, v26 offset1:66
	v_add3_u32 v10, 0, v10, v12
	v_pack_b32_f16 v12, v15, v30
	v_pack_b32_f16 v14, v27, v41
	;; [unrolled: 1-line block ×3, first 2 shown]
	v_fma_f16 v29, v50, s7, v22
	ds_write2_b32 v10, v12, v14 offset1:66
	ds_write_b32 v10, v11 offset:528
	v_mul_u32_u24_e32 v10, 0x318, v35
	v_lshlrev_b32_e32 v11, 2, v36
	v_fma_f16 v22, v50, s10, v22
	v_add3_u32 v10, 0, v10, v11
	v_pack_b32_f16 v11, v37, v42
	v_pack_b32_f16 v12, v29, v25
	ds_write2_b32 v10, v11, v12 offset1:66
	v_pack_b32_f16 v11, v22, v17
	ds_write_b32 v10, v11 offset:528
	s_and_saveexec_b64 s[4:5], vcc
	s_cbranch_execz .LBB0_27
; %bb.26:
	v_mul_u32_u24_sdwa v10, v16, s11 dst_sel:DWORD dst_unused:UNUSED_PAD src0_sel:WORD_0 src1_sel:DWORD
	v_lshrrev_b32_e32 v10, 22, v10
	v_mul_lo_u16_e32 v10, 0x42, v10
	v_sub_u16_e32 v12, v16, v10
	v_lshlrev_b32_e32 v10, 3, v12
	global_load_dwordx2 v[10:11], v10, s[8:9] offset:220
	v_lshl_add_u32 v12, v12, 2, 0
	v_add_u32_e32 v13, 0x1a00, v12
	s_waitcnt vmcnt(0)
	v_mul_f16_sdwa v14, v19, v11 dst_sel:DWORD dst_unused:UNUSED_PAD src0_sel:DWORD src1_sel:WORD_1
	v_mul_f16_sdwa v15, v21, v10 dst_sel:DWORD dst_unused:UNUSED_PAD src0_sel:DWORD src1_sel:WORD_1
	;; [unrolled: 1-line block ×4, first 2 shown]
	v_fma_f16 v14, v23, v11, v14
	v_fma_f16 v15, v24, v10, v15
	v_fma_f16 v10, v21, v10, -v16
	v_fma_f16 v11, v19, v11, -v17
	v_add_f16_e32 v17, v1, v10
	v_sub_f16_e32 v18, v10, v11
	v_add_f16_e32 v19, v15, v14
	v_add_f16_e32 v10, v10, v11
	;; [unrolled: 1-line block ×3, first 2 shown]
	v_sub_f16_e32 v15, v15, v14
	v_fma_f16 v5, v19, -0.5, v5
	v_fma_f16 v1, v10, -0.5, v1
	v_add_f16_e32 v14, v16, v14
	v_add_f16_e32 v11, v17, v11
	v_fma_f16 v10, v18, s7, v5
	v_fma_f16 v5, v18, s10, v5
	;; [unrolled: 1-line block ×4, first 2 shown]
	v_pack_b32_f16 v11, v11, v14
	v_pack_b32_f16 v1, v1, v5
	;; [unrolled: 1-line block ×3, first 2 shown]
	ds_write2_b32 v13, v11, v1 offset0:118 offset1:184
	ds_write_b32 v12, v5 offset:7656
.LBB0_27:
	s_or_b64 exec, exec, s[4:5]
	v_mov_b32_e32 v5, 0
	v_lshlrev_b64 v[10:11], 2, v[4:5]
	v_mov_b32_e32 v1, s9
	v_add_co_u32_e32 v10, vcc, s8, v10
	v_addc_co_u32_e32 v11, vcc, v1, v11, vcc
	s_waitcnt lgkmcnt(0)
	s_barrier
	global_load_dwordx4 v[10:13], v[10:11], off offset:748
	v_add_u32_e32 v4, 0x600, v20
	ds_read2_b32 v[14:15], v20 offset1:198
	v_add_u32_e32 v25, 0xc00, v20
	v_add_u32_e32 v26, 0x1200, v20
	;; [unrolled: 1-line block ×3, first 2 shown]
	ds_read2_b32 v[16:17], v4 offset0:12 offset1:210
	ds_read2_b32 v[18:19], v25 offset0:24 offset1:222
	;; [unrolled: 1-line block ×4, first 2 shown]
	s_movk_i32 s4, 0x3b9c
	s_waitcnt lgkmcnt(3)
	v_lshrrev_b32_e32 v33, 16, v16
	s_waitcnt lgkmcnt(2)
	v_lshrrev_b32_e32 v34, 16, v18
	s_waitcnt lgkmcnt(1)
	v_lshrrev_b32_e32 v35, 16, v21
	v_lshrrev_b32_e32 v31, 16, v22
	s_waitcnt lgkmcnt(0)
	v_lshrrev_b32_e32 v36, 16, v23
	v_lshrrev_b32_e32 v32, 16, v24
	;; [unrolled: 1-line block ×4, first 2 shown]
	s_mov_b32 s9, 0xbb9c
	s_movk_i32 s5, 0x38b4
	s_mov_b32 s10, 0xb8b4
	v_lshrrev_b32_e32 v28, 16, v14
	s_movk_i32 s7, 0x34f2
	v_lshrrev_b32_e32 v29, 16, v15
	s_waitcnt vmcnt(0)
	s_barrier
	v_add_co_u32_e32 v6, vcc, s8, v6
	v_addc_co_u32_e32 v7, vcc, v1, v7, vcc
	v_add_co_u32_e32 v8, vcc, s8, v8
	v_addc_co_u32_e32 v1, vcc, v1, v9, vcc
	v_mul_f16_sdwa v40, v11, v34 dst_sel:DWORD dst_unused:UNUSED_PAD src0_sel:WORD_1 src1_sel:DWORD
	v_mul_f16_sdwa v42, v12, v35 dst_sel:DWORD dst_unused:UNUSED_PAD src0_sel:WORD_1 src1_sel:DWORD
	;; [unrolled: 1-line block ×8, first 2 shown]
	v_mul_f16_sdwa v50, v31, v12 dst_sel:DWORD dst_unused:UNUSED_PAD src0_sel:DWORD src1_sel:WORD_1
	v_mul_f16_sdwa v51, v22, v12 dst_sel:DWORD dst_unused:UNUSED_PAD src0_sel:DWORD src1_sel:WORD_1
	v_fma_f16 v18, v11, v18, -v40
	v_fma_f16 v21, v12, v21, -v42
	v_mul_f16_sdwa v52, v32, v13 dst_sel:DWORD dst_unused:UNUSED_PAD src0_sel:DWORD src1_sel:WORD_1
	v_mul_f16_sdwa v53, v24, v13 dst_sel:DWORD dst_unused:UNUSED_PAD src0_sel:DWORD src1_sel:WORD_1
	v_fma_f16 v16, v10, v16, -v38
	v_fma_f16 v33, v10, v33, v39
	v_fma_f16 v35, v12, v35, v43
	v_fma_f16 v23, v13, v23, -v44
	v_fma_f16 v36, v13, v36, v45
	v_fma_f16 v22, v22, v12, -v50
	v_fma_f16 v12, v31, v12, v51
	v_add_f16_e32 v31, v18, v21
	v_mul_f16_sdwa v46, v10, v37 dst_sel:DWORD dst_unused:UNUSED_PAD src0_sel:WORD_1 src1_sel:DWORD
	v_mul_f16_sdwa v47, v10, v17 dst_sel:DWORD dst_unused:UNUSED_PAD src0_sel:WORD_1 src1_sel:DWORD
	v_mul_f16_sdwa v48, v30, v11 dst_sel:DWORD dst_unused:UNUSED_PAD src0_sel:DWORD src1_sel:WORD_1
	v_mul_f16_sdwa v49, v19, v11 dst_sel:DWORD dst_unused:UNUSED_PAD src0_sel:DWORD src1_sel:WORD_1
	v_fma_f16 v34, v11, v34, v41
	v_fma_f16 v24, v24, v13, -v52
	v_fma_f16 v13, v32, v13, v53
	v_sub_f16_e32 v32, v33, v36
	v_add_f16_e32 v40, v16, v23
	v_fma_f16 v31, v31, -0.5, v14
	v_fma_f16 v17, v10, v17, -v46
	v_fma_f16 v10, v10, v37, v47
	v_fma_f16 v19, v19, v11, -v48
	v_fma_f16 v11, v30, v11, v49
	v_add_f16_e32 v30, v14, v16
	v_sub_f16_e32 v37, v34, v35
	v_sub_f16_e32 v38, v16, v18
	;; [unrolled: 1-line block ×5, first 2 shown]
	v_fma_f16 v14, v40, -0.5, v14
	v_fma_f16 v40, v32, s4, v31
	v_fma_f16 v31, v32, s9, v31
	v_add_f16_e32 v30, v30, v18
	v_add_f16_e32 v38, v38, v39
	;; [unrolled: 1-line block ×3, first 2 shown]
	v_fma_f16 v41, v37, s9, v14
	v_fma_f16 v40, v37, s5, v40
	;; [unrolled: 1-line block ×4, first 2 shown]
	v_add_f16_e32 v37, v34, v35
	v_add_f16_e32 v30, v30, v21
	v_fma_f16 v37, v37, -0.5, v28
	v_sub_f16_e32 v16, v16, v23
	v_add_f16_e32 v30, v30, v23
	v_fma_f16 v41, v32, s5, v41
	v_fma_f16 v14, v32, s10, v14
	;; [unrolled: 1-line block ×3, first 2 shown]
	v_sub_f16_e32 v18, v18, v21
	v_fma_f16 v40, v38, s7, v40
	v_fma_f16 v31, v38, s7, v31
	;; [unrolled: 1-line block ×5, first 2 shown]
	v_sub_f16_e32 v23, v33, v34
	v_sub_f16_e32 v39, v36, v35
	v_fma_f16 v37, v16, s4, v37
	v_add_f16_e32 v23, v23, v39
	v_fma_f16 v37, v18, s5, v37
	v_fma_f16 v21, v23, s7, v21
	;; [unrolled: 1-line block ×3, first 2 shown]
	v_add_f16_e32 v37, v33, v36
	v_add_f16_e32 v32, v28, v33
	v_fma_f16 v28, v37, -0.5, v28
	v_add_f16_e32 v32, v32, v34
	v_fma_f16 v37, v18, s4, v28
	v_sub_f16_e32 v33, v34, v33
	v_sub_f16_e32 v34, v35, v36
	v_fma_f16 v18, v18, s9, v28
	v_fma_f16 v37, v16, s10, v37
	v_add_f16_e32 v33, v33, v34
	v_fma_f16 v16, v16, s5, v18
	v_add_f16_e32 v28, v19, v22
	v_add_f16_e32 v32, v32, v35
	v_fma_f16 v34, v33, s7, v37
	v_fma_f16 v16, v33, s7, v16
	v_fma_f16 v28, v28, -0.5, v15
	v_sub_f16_e32 v33, v10, v13
	v_add_f16_e32 v32, v32, v36
	v_fma_f16 v35, v33, s4, v28
	v_sub_f16_e32 v36, v11, v12
	v_sub_f16_e32 v37, v17, v19
	;; [unrolled: 1-line block ×3, first 2 shown]
	v_fma_f16 v28, v33, s9, v28
	v_fma_f16 v35, v36, s5, v35
	v_add_f16_e32 v37, v37, v39
	v_fma_f16 v28, v36, s10, v28
	v_fma_f16 v35, v37, s7, v35
	;; [unrolled: 1-line block ×3, first 2 shown]
	v_add_f16_e32 v37, v17, v24
	v_add_f16_e32 v18, v15, v17
	v_fma_f16 v15, v37, -0.5, v15
	v_add_f16_e32 v18, v18, v19
	v_fma_f16 v37, v36, s9, v15
	v_fma_f16 v15, v36, s4, v15
	v_add_f16_e32 v36, v11, v12
	v_add_f16_e32 v18, v18, v22
	v_sub_f16_e32 v39, v19, v17
	v_sub_f16_e32 v41, v22, v24
	v_fma_f16 v36, v36, -0.5, v29
	v_sub_f16_e32 v17, v17, v24
	v_add_f16_e32 v18, v18, v24
	v_fma_f16 v37, v33, s5, v37
	v_add_f16_e32 v39, v39, v41
	v_fma_f16 v15, v33, s10, v15
	v_fma_f16 v24, v17, s9, v36
	v_sub_f16_e32 v19, v19, v22
	v_fma_f16 v37, v39, s7, v37
	v_fma_f16 v15, v39, s7, v15
	;; [unrolled: 1-line block ×3, first 2 shown]
	v_sub_f16_e32 v24, v10, v11
	v_sub_f16_e32 v39, v13, v12
	v_fma_f16 v36, v17, s4, v36
	v_add_f16_e32 v24, v24, v39
	v_fma_f16 v36, v19, s5, v36
	v_add_f16_e32 v33, v29, v10
	v_fma_f16 v22, v24, s7, v22
	v_fma_f16 v24, v24, s7, v36
	v_add_f16_e32 v36, v10, v13
	v_add_f16_e32 v33, v33, v11
	v_fma_f16 v29, v36, -0.5, v29
	v_add_f16_e32 v33, v33, v12
	v_fma_f16 v36, v19, s4, v29
	v_sub_f16_e32 v10, v11, v10
	v_sub_f16_e32 v11, v12, v13
	v_fma_f16 v12, v19, s9, v29
	v_fma_f16 v36, v17, s10, v36
	v_add_f16_e32 v10, v10, v11
	v_fma_f16 v12, v17, s5, v12
	v_add_f16_e32 v33, v33, v13
	v_fma_f16 v11, v10, s7, v36
	v_fma_f16 v10, v10, s7, v12
	v_pack_b32_f16 v12, v30, v32
	v_pack_b32_f16 v13, v40, v21
	ds_write2_b32 v20, v12, v13 offset1:198
	v_pack_b32_f16 v12, v38, v34
	v_pack_b32_f16 v13, v14, v16
	ds_write2_b32 v4, v12, v13 offset0:12 offset1:210
	v_pack_b32_f16 v12, v31, v23
	v_pack_b32_f16 v13, v18, v33
	ds_write2_b32 v25, v12, v13 offset0:24 offset1:222
	;; [unrolled: 3-line block ×4, first 2 shown]
	s_waitcnt lgkmcnt(0)
	s_barrier
	global_load_dword v16, v[6:7], off offset:3916
	s_movk_i32 s4, 0x1000
	v_add_co_u32_e32 v6, vcc, s4, v8
	v_addc_co_u32_e32 v7, vcc, 0, v1, vcc
	global_load_dword v1, v[6:7], off offset:612
	global_load_dword v17, v[6:7], off offset:1404
	;; [unrolled: 1-line block ×4, first 2 shown]
	ds_read2_b32 v[6:7], v25 offset0:24 offset1:222
	ds_read2_b32 v[8:9], v20 offset1:198
	ds_read2_b32 v[10:11], v26 offset0:36 offset1:234
	ds_read2_b32 v[12:13], v4 offset0:12 offset1:210
	;; [unrolled: 1-line block ×3, first 2 shown]
	s_waitcnt vmcnt(0) lgkmcnt(0)
	s_barrier
	v_pk_mul_f16 v21, v16, v7 op_sel:[0,1]
	v_pk_fma_f16 v22, v16, v7, v21 op_sel:[0,0,1] op_sel_hi:[1,1,0] neg_lo:[0,0,1] neg_hi:[0,0,1]
	v_pk_fma_f16 v7, v16, v7, v21 op_sel:[0,0,1] op_sel_hi:[1,0,0]
	v_pk_mul_f16 v16, v1, v10 op_sel:[0,1]
	v_pk_fma_f16 v21, v1, v10, v16 op_sel:[0,0,1] op_sel_hi:[1,1,0] neg_lo:[0,0,1] neg_hi:[0,0,1]
	v_pk_fma_f16 v1, v1, v10, v16 op_sel:[0,0,1] op_sel_hi:[1,0,0]
	;; [unrolled: 3-line block ×3, first 2 shown]
	v_bfi_b32 v10, s6, v16, v10
	v_pk_add_f16 v10, v12, v10 neg_lo:[0,1] neg_hi:[0,1]
	v_pk_fma_f16 v11, v12, 2.0, v10 op_sel_hi:[1,0,1] neg_lo:[0,0,1] neg_hi:[0,0,1]
	v_pk_mul_f16 v12, v18, v14 op_sel:[0,1]
	v_pk_fma_f16 v16, v18, v14, v12 op_sel:[0,0,1] op_sel_hi:[1,1,0] neg_lo:[0,0,1] neg_hi:[0,0,1]
	v_pk_fma_f16 v12, v18, v14, v12 op_sel:[0,0,1] op_sel_hi:[1,0,0]
	v_pk_mul_f16 v14, v19, v15 op_sel:[0,1]
	v_bfi_b32 v7, s6, v22, v7
	v_bfi_b32 v1, s6, v21, v1
	;; [unrolled: 1-line block ×3, first 2 shown]
	v_pk_fma_f16 v16, v19, v15, v14 op_sel:[0,0,1] op_sel_hi:[1,1,0] neg_lo:[0,0,1] neg_hi:[0,0,1]
	v_pk_fma_f16 v14, v19, v15, v14 op_sel:[0,0,1] op_sel_hi:[1,0,0]
	v_pk_add_f16 v7, v8, v7 neg_lo:[0,1] neg_hi:[0,1]
	v_pk_add_f16 v1, v9, v1 neg_lo:[0,1] neg_hi:[0,1]
	v_bfi_b32 v14, s6, v16, v14
	v_pk_fma_f16 v8, v8, 2.0, v7 op_sel_hi:[1,0,1] neg_lo:[0,0,1] neg_hi:[0,0,1]
	v_pk_fma_f16 v9, v9, 2.0, v1 op_sel_hi:[1,0,1] neg_lo:[0,0,1] neg_hi:[0,0,1]
	v_pk_add_f16 v12, v13, v12 neg_lo:[0,1] neg_hi:[0,1]
	v_pk_add_f16 v14, v6, v14 neg_lo:[0,1] neg_hi:[0,1]
	v_pk_fma_f16 v13, v13, 2.0, v12 op_sel_hi:[1,0,1] neg_lo:[0,0,1] neg_hi:[0,0,1]
	v_pk_fma_f16 v6, v6, 2.0, v14 op_sel_hi:[1,0,1] neg_lo:[0,0,1] neg_hi:[0,0,1]
	ds_write2_b32 v20, v8, v9 offset1:198
	ds_write2_b32 v26, v1, v10 offset0:36 offset1:234
	ds_write2_b32 v4, v11, v13 offset0:12 offset1:210
	ds_write2_b32 v25, v6, v7 offset0:24 offset1:222
	ds_write2_b32 v27, v12, v14 offset0:48 offset1:246
	s_waitcnt lgkmcnt(0)
	s_barrier
	s_and_saveexec_b64 s[4:5], s[0:1]
	s_cbranch_execz .LBB0_29
; %bb.28:
	v_lshl_add_u32 v8, v0, 2, 0
	v_mov_b32_e32 v1, v5
	ds_read2_b32 v[6:7], v8 offset1:198
	v_mov_b32_e32 v4, s3
	v_add_co_u32_e32 v9, vcc, s2, v2
	v_lshlrev_b64 v[1:2], 2, v[0:1]
	v_addc_co_u32_e32 v10, vcc, v4, v3, vcc
	v_add_co_u32_e32 v1, vcc, v9, v1
	v_addc_co_u32_e32 v2, vcc, v10, v2, vcc
	v_add_u32_e32 v4, 0xc6, v0
	s_waitcnt lgkmcnt(0)
	global_store_dword v[1:2], v6, off
	v_lshlrev_b64 v[1:2], 2, v[4:5]
	v_add_u32_e32 v4, 0x18c, v0
	v_add_co_u32_e32 v1, vcc, v9, v1
	v_addc_co_u32_e32 v2, vcc, v10, v2, vcc
	global_store_dword v[1:2], v7, off
	v_add_u32_e32 v1, 0x600, v8
	ds_read2_b32 v[1:2], v1 offset0:12 offset1:210
	v_lshlrev_b64 v[3:4], 2, v[4:5]
	v_add_co_u32_e32 v3, vcc, v9, v3
	v_addc_co_u32_e32 v4, vcc, v10, v4, vcc
	s_waitcnt lgkmcnt(0)
	global_store_dword v[3:4], v1, off
	v_add_u32_e32 v4, 0x252, v0
	v_lshlrev_b64 v[3:4], 2, v[4:5]
	v_add_u32_e32 v1, 0xc00, v8
	v_add_co_u32_e32 v3, vcc, v9, v3
	v_addc_co_u32_e32 v4, vcc, v10, v4, vcc
	global_store_dword v[3:4], v2, off
	v_add_u32_e32 v4, 0x318, v0
	ds_read2_b32 v[1:2], v1 offset0:24 offset1:222
	v_lshlrev_b64 v[3:4], 2, v[4:5]
	v_add_co_u32_e32 v3, vcc, v9, v3
	v_addc_co_u32_e32 v4, vcc, v10, v4, vcc
	s_waitcnt lgkmcnt(0)
	global_store_dword v[3:4], v1, off
	v_add_u32_e32 v4, 0x3de, v0
	;; [unrolled: 13-line block ×4, first 2 shown]
	v_lshlrev_b64 v[0:1], 2, v[4:5]
	v_add_co_u32_e32 v0, vcc, v9, v0
	v_addc_co_u32_e32 v1, vcc, v10, v1, vcc
	global_store_dword v[0:1], v2, off
.LBB0_29:
	s_endpgm
	.section	.rodata,"a",@progbits
	.p2align	6, 0x0
	.amdhsa_kernel fft_rtc_fwd_len1980_factors_11_2_3_3_5_2_wgs_198_tpt_198_halfLds_half_ip_CI_unitstride_sbrr_C2R_dirReg
		.amdhsa_group_segment_fixed_size 0
		.amdhsa_private_segment_fixed_size 0
		.amdhsa_kernarg_size 88
		.amdhsa_user_sgpr_count 6
		.amdhsa_user_sgpr_private_segment_buffer 1
		.amdhsa_user_sgpr_dispatch_ptr 0
		.amdhsa_user_sgpr_queue_ptr 0
		.amdhsa_user_sgpr_kernarg_segment_ptr 1
		.amdhsa_user_sgpr_dispatch_id 0
		.amdhsa_user_sgpr_flat_scratch_init 0
		.amdhsa_user_sgpr_private_segment_size 0
		.amdhsa_uses_dynamic_stack 0
		.amdhsa_system_sgpr_private_segment_wavefront_offset 0
		.amdhsa_system_sgpr_workgroup_id_x 1
		.amdhsa_system_sgpr_workgroup_id_y 0
		.amdhsa_system_sgpr_workgroup_id_z 0
		.amdhsa_system_sgpr_workgroup_info 0
		.amdhsa_system_vgpr_workitem_id 0
		.amdhsa_next_free_vgpr 75
		.amdhsa_next_free_sgpr 26
		.amdhsa_reserve_vcc 1
		.amdhsa_reserve_flat_scratch 0
		.amdhsa_float_round_mode_32 0
		.amdhsa_float_round_mode_16_64 0
		.amdhsa_float_denorm_mode_32 3
		.amdhsa_float_denorm_mode_16_64 3
		.amdhsa_dx10_clamp 1
		.amdhsa_ieee_mode 1
		.amdhsa_fp16_overflow 0
		.amdhsa_exception_fp_ieee_invalid_op 0
		.amdhsa_exception_fp_denorm_src 0
		.amdhsa_exception_fp_ieee_div_zero 0
		.amdhsa_exception_fp_ieee_overflow 0
		.amdhsa_exception_fp_ieee_underflow 0
		.amdhsa_exception_fp_ieee_inexact 0
		.amdhsa_exception_int_div_zero 0
	.end_amdhsa_kernel
	.text
.Lfunc_end0:
	.size	fft_rtc_fwd_len1980_factors_11_2_3_3_5_2_wgs_198_tpt_198_halfLds_half_ip_CI_unitstride_sbrr_C2R_dirReg, .Lfunc_end0-fft_rtc_fwd_len1980_factors_11_2_3_3_5_2_wgs_198_tpt_198_halfLds_half_ip_CI_unitstride_sbrr_C2R_dirReg
                                        ; -- End function
	.section	.AMDGPU.csdata,"",@progbits
; Kernel info:
; codeLenInByte = 9864
; NumSgprs: 30
; NumVgprs: 75
; ScratchSize: 0
; MemoryBound: 0
; FloatMode: 240
; IeeeMode: 1
; LDSByteSize: 0 bytes/workgroup (compile time only)
; SGPRBlocks: 3
; VGPRBlocks: 18
; NumSGPRsForWavesPerEU: 30
; NumVGPRsForWavesPerEU: 75
; Occupancy: 3
; WaveLimiterHint : 1
; COMPUTE_PGM_RSRC2:SCRATCH_EN: 0
; COMPUTE_PGM_RSRC2:USER_SGPR: 6
; COMPUTE_PGM_RSRC2:TRAP_HANDLER: 0
; COMPUTE_PGM_RSRC2:TGID_X_EN: 1
; COMPUTE_PGM_RSRC2:TGID_Y_EN: 0
; COMPUTE_PGM_RSRC2:TGID_Z_EN: 0
; COMPUTE_PGM_RSRC2:TIDIG_COMP_CNT: 0
	.type	__hip_cuid_3951e3520183e498,@object ; @__hip_cuid_3951e3520183e498
	.section	.bss,"aw",@nobits
	.globl	__hip_cuid_3951e3520183e498
__hip_cuid_3951e3520183e498:
	.byte	0                               ; 0x0
	.size	__hip_cuid_3951e3520183e498, 1

	.ident	"AMD clang version 19.0.0git (https://github.com/RadeonOpenCompute/llvm-project roc-6.4.0 25133 c7fe45cf4b819c5991fe208aaa96edf142730f1d)"
	.section	".note.GNU-stack","",@progbits
	.addrsig
	.addrsig_sym __hip_cuid_3951e3520183e498
	.amdgpu_metadata
---
amdhsa.kernels:
  - .args:
      - .actual_access:  read_only
        .address_space:  global
        .offset:         0
        .size:           8
        .value_kind:     global_buffer
      - .offset:         8
        .size:           8
        .value_kind:     by_value
      - .actual_access:  read_only
        .address_space:  global
        .offset:         16
        .size:           8
        .value_kind:     global_buffer
      - .actual_access:  read_only
        .address_space:  global
        .offset:         24
        .size:           8
        .value_kind:     global_buffer
      - .offset:         32
        .size:           8
        .value_kind:     by_value
      - .actual_access:  read_only
        .address_space:  global
        .offset:         40
        .size:           8
        .value_kind:     global_buffer
      - .actual_access:  read_only
        .address_space:  global
        .offset:         48
        .size:           8
        .value_kind:     global_buffer
      - .offset:         56
        .size:           4
        .value_kind:     by_value
      - .actual_access:  read_only
        .address_space:  global
        .offset:         64
        .size:           8
        .value_kind:     global_buffer
      - .actual_access:  read_only
        .address_space:  global
        .offset:         72
        .size:           8
        .value_kind:     global_buffer
      - .address_space:  global
        .offset:         80
        .size:           8
        .value_kind:     global_buffer
    .group_segment_fixed_size: 0
    .kernarg_segment_align: 8
    .kernarg_segment_size: 88
    .language:       OpenCL C
    .language_version:
      - 2
      - 0
    .max_flat_workgroup_size: 198
    .name:           fft_rtc_fwd_len1980_factors_11_2_3_3_5_2_wgs_198_tpt_198_halfLds_half_ip_CI_unitstride_sbrr_C2R_dirReg
    .private_segment_fixed_size: 0
    .sgpr_count:     30
    .sgpr_spill_count: 0
    .symbol:         fft_rtc_fwd_len1980_factors_11_2_3_3_5_2_wgs_198_tpt_198_halfLds_half_ip_CI_unitstride_sbrr_C2R_dirReg.kd
    .uniform_work_group_size: 1
    .uses_dynamic_stack: false
    .vgpr_count:     75
    .vgpr_spill_count: 0
    .wavefront_size: 64
amdhsa.target:   amdgcn-amd-amdhsa--gfx906
amdhsa.version:
  - 1
  - 2
...

	.end_amdgpu_metadata
